;; amdgpu-corpus repo=ROCm/rocFFT kind=compiled arch=gfx1030 opt=O3
	.text
	.amdgcn_target "amdgcn-amd-amdhsa--gfx1030"
	.amdhsa_code_object_version 6
	.protected	bluestein_single_back_len160_dim1_dp_op_CI_CI ; -- Begin function bluestein_single_back_len160_dim1_dp_op_CI_CI
	.globl	bluestein_single_back_len160_dim1_dp_op_CI_CI
	.p2align	8
	.type	bluestein_single_back_len160_dim1_dp_op_CI_CI,@function
bluestein_single_back_len160_dim1_dp_op_CI_CI: ; @bluestein_single_back_len160_dim1_dp_op_CI_CI
; %bb.0:
	s_load_dwordx4 s[0:3], s[4:5], 0x28
	v_lshrrev_b32_e32 v1, 4, v0
	v_mov_b32_e32 v109, 0
	v_lshl_or_b32 v108, s6, 4, v1
	s_waitcnt lgkmcnt(0)
	v_cmp_gt_u64_e32 vcc_lo, s[0:1], v[108:109]
	s_and_saveexec_b32 s0, vcc_lo
	s_cbranch_execz .LBB0_15
; %bb.1:
	s_clause 0x1
	s_load_dwordx2 s[12:13], s[4:5], 0x0
	s_load_dwordx2 s[14:15], s[4:5], 0x38
	v_and_b32_e32 v112, 15, v0
	v_mul_u32_u24_e32 v113, 0xa0, v1
	v_cmp_gt_u32_e32 vcc_lo, 10, v112
	v_lshlrev_b32_e32 v111, 4, v112
	v_or_b32_e32 v72, v113, v112
	v_add_lshl_u32 v50, v113, v112, 4
	s_and_saveexec_b32 s1, vcc_lo
	s_cbranch_execz .LBB0_3
; %bb.2:
	s_load_dwordx2 s[6:7], s[4:5], 0x18
	s_waitcnt lgkmcnt(0)
	v_add_co_u32 v55, s0, s12, v111
	v_add_co_ci_u32_e64 v56, null, s13, 0, s0
	s_load_dwordx4 s[8:11], s[6:7], 0x0
	s_waitcnt lgkmcnt(0)
	v_mad_u64_u32 v[40:41], null, s10, v108, 0
	v_mad_u64_u32 v[48:49], null, s8, v112, 0
	s_mul_i32 s6, s9, 0xa0
	s_mul_hi_u32 s7, s8, 0xa0
	s_add_i32 s7, s7, s6
	v_mov_b32_e32 v0, v41
	v_mov_b32_e32 v16, v49
	v_mad_u64_u32 v[24:25], null, s11, v108, v[0:1]
	v_mad_u64_u32 v[42:43], null, s9, v112, v[16:17]
	s_clause 0x5
	global_load_dwordx4 v[0:3], v111, s[12:13]
	global_load_dwordx4 v[4:7], v111, s[12:13] offset:160
	global_load_dwordx4 v[8:11], v111, s[12:13] offset:320
	;; [unrolled: 1-line block ×5, first 2 shown]
	v_mov_b32_e32 v41, v24
	s_clause 0x3
	global_load_dwordx4 v[24:27], v111, s[12:13] offset:960
	global_load_dwordx4 v[28:31], v111, s[12:13] offset:1120
	;; [unrolled: 1-line block ×4, first 2 shown]
	v_mov_b32_e32 v49, v42
	v_lshlrev_b64 v[51:52], 4, v[40:41]
	s_clause 0x1
	global_load_dwordx4 v[40:43], v111, s[12:13] offset:1600
	global_load_dwordx4 v[44:47], v111, s[12:13] offset:1760
	v_lshlrev_b64 v[48:49], 4, v[48:49]
	v_add_co_u32 v51, s0, s2, v51
	v_add_co_ci_u32_e64 v52, s0, s3, v52, s0
	s_mul_i32 s2, s8, 0xa0
	v_add_co_u32 v48, s0, v51, v48
	v_add_co_ci_u32_e64 v49, s0, v52, v49, s0
	global_load_dwordx4 v[51:54], v111, s[12:13] offset:1920
	v_add_co_u32 v59, s0, v48, s2
	v_add_co_ci_u32_e64 v60, s0, s7, v49, s0
	v_add_co_u32 v63, s0, v59, s2
	v_add_co_ci_u32_e64 v64, s0, s7, v60, s0
	;; [unrolled: 2-line block ×4, first 2 shown]
	s_clause 0x1
	global_load_dwordx4 v[55:58], v[48:49], off
	global_load_dwordx4 v[59:62], v[59:60], off
	v_add_co_u32 v48, s0, v67, s2
	v_add_co_ci_u32_e64 v49, s0, s7, v68, s0
	s_clause 0x1
	global_load_dwordx4 v[63:66], v[63:64], off
	global_load_dwordx4 v[67:70], v[67:68], off
	v_add_co_u32 v77, s0, v48, s2
	v_add_co_ci_u32_e64 v78, s0, s7, v49, s0
	global_load_dwordx4 v[73:76], v[48:49], off
	v_add_co_u32 v48, s0, v77, s2
	v_add_co_ci_u32_e64 v49, s0, s7, v78, s0
	;; [unrolled: 3-line block ×11, first 2 shown]
	s_clause 0x1
	global_load_dwordx4 v[122:125], v[105:106], off offset:32
	global_load_dwordx4 v[126:129], v[105:106], off offset:192
	global_load_dwordx4 v[130:133], v[48:49], off
	global_load_dwordx4 v[134:137], v[105:106], off offset:352
	global_load_dwordx4 v[138:141], v[109:110], off
	s_waitcnt vmcnt(18)
	v_mul_f64 v[48:49], v[57:58], v[2:3]
	v_mul_f64 v[2:3], v[55:56], v[2:3]
	s_waitcnt vmcnt(17)
	v_mul_f64 v[105:106], v[61:62], v[6:7]
	v_mul_f64 v[6:7], v[59:60], v[6:7]
	;; [unrolled: 3-line block ×5, first 2 shown]
	v_fma_f64 v[55:56], v[55:56], v[0:1], v[48:49]
	s_waitcnt vmcnt(13)
	v_mul_f64 v[48:49], v[79:80], v[22:23]
	v_mul_f64 v[22:23], v[77:78], v[22:23]
	v_fma_f64 v[57:58], v[57:58], v[0:1], -v[2:3]
	v_fma_f64 v[0:1], v[59:60], v[4:5], v[105:106]
	s_waitcnt vmcnt(12)
	v_mul_f64 v[59:60], v[83:84], v[26:27]
	v_mul_f64 v[26:27], v[81:82], v[26:27]
	v_fma_f64 v[2:3], v[61:62], v[4:5], -v[6:7]
	s_waitcnt vmcnt(11)
	v_mul_f64 v[61:62], v[87:88], v[30:31]
	v_mul_f64 v[30:31], v[85:86], v[30:31]
	v_fma_f64 v[4:5], v[63:64], v[8:9], v[109:110]
	s_waitcnt vmcnt(10)
	v_mul_f64 v[63:64], v[91:92], v[34:35]
	v_mul_f64 v[34:35], v[89:90], v[34:35]
	v_fma_f64 v[6:7], v[65:66], v[8:9], -v[10:11]
	s_waitcnt vmcnt(9)
	v_mul_f64 v[65:66], v[95:96], v[38:39]
	v_mul_f64 v[38:39], v[93:94], v[38:39]
	v_fma_f64 v[8:9], v[67:68], v[12:13], v[142:143]
	v_fma_f64 v[10:11], v[69:70], v[12:13], -v[14:15]
	v_fma_f64 v[12:13], v[73:74], v[16:17], v[144:145]
	s_waitcnt vmcnt(8)
	v_mul_f64 v[67:68], v[99:100], v[42:43]
	v_mul_f64 v[42:43], v[97:98], v[42:43]
	v_fma_f64 v[14:15], v[75:76], v[16:17], -v[18:19]
	v_fma_f64 v[16:17], v[77:78], v[20:21], v[48:49]
	s_waitcnt vmcnt(7)
	v_mul_f64 v[69:70], v[103:104], v[46:47]
	v_mul_f64 v[46:47], v[101:102], v[46:47]
	v_fma_f64 v[18:19], v[79:80], v[20:21], -v[22:23]
	v_fma_f64 v[20:21], v[81:82], v[24:25], v[59:60]
	v_fma_f64 v[22:23], v[83:84], v[24:25], -v[26:27]
	s_waitcnt vmcnt(6)
	v_mul_f64 v[73:74], v[116:117], v[53:54]
	v_mul_f64 v[53:54], v[114:115], v[53:54]
	v_fma_f64 v[24:25], v[85:86], v[28:29], v[61:62]
	v_fma_f64 v[26:27], v[87:88], v[28:29], -v[30:31]
	v_fma_f64 v[28:29], v[89:90], v[32:33], v[63:64]
	v_fma_f64 v[30:31], v[91:92], v[32:33], -v[34:35]
	s_waitcnt vmcnt(4)
	v_mul_f64 v[75:76], v[120:121], v[124:125]
	v_mul_f64 v[105:106], v[118:119], v[124:125]
	s_waitcnt vmcnt(2)
	v_mul_f64 v[109:110], v[132:133], v[128:129]
	v_mul_f64 v[124:125], v[130:131], v[128:129]
	;; [unrolled: 3-line block ×3, first 2 shown]
	v_fma_f64 v[32:33], v[93:94], v[36:37], v[65:66]
	v_fma_f64 v[34:35], v[95:96], v[36:37], -v[38:39]
	v_fma_f64 v[36:37], v[97:98], v[40:41], v[67:68]
	v_fma_f64 v[38:39], v[99:100], v[40:41], -v[42:43]
	v_lshlrev_b32_e32 v48, 4, v72
	v_fma_f64 v[40:41], v[101:102], v[44:45], v[69:70]
	v_fma_f64 v[42:43], v[103:104], v[44:45], -v[46:47]
	v_lshl_add_u32 v49, v113, 4, v111
	v_fma_f64 v[44:45], v[114:115], v[51:52], v[73:74]
	v_fma_f64 v[46:47], v[116:117], v[51:52], -v[53:54]
	v_fma_f64 v[51:52], v[118:119], v[122:123], v[75:76]
	v_fma_f64 v[53:54], v[120:121], v[122:123], -v[105:106]
	;; [unrolled: 2-line block ×4, first 2 shown]
	ds_write_b128 v48, v[55:58]
	ds_write_b128 v50, v[0:3] offset:160
	ds_write_b128 v49, v[4:7] offset:320
	;; [unrolled: 1-line block ×15, first 2 shown]
.LBB0_3:
	s_or_b32 exec_lo, exec_lo, s1
	s_load_dwordx2 s[0:1], s[4:5], 0x20
	v_lshlrev_b32_e32 v100, 4, v113
	s_waitcnt lgkmcnt(0)
	s_barrier
	buffer_gl0_inv
                                        ; implicit-def: $vgpr0_vgpr1
                                        ; implicit-def: $vgpr20_vgpr21
                                        ; implicit-def: $vgpr28_vgpr29
                                        ; implicit-def: $vgpr56_vgpr57
                                        ; implicit-def: $vgpr60_vgpr61
                                        ; implicit-def: $vgpr44_vgpr45
                                        ; implicit-def: $vgpr52_vgpr53
                                        ; implicit-def: $vgpr36_vgpr37
                                        ; implicit-def: $vgpr40_vgpr41
                                        ; implicit-def: $vgpr32_vgpr33
                                        ; implicit-def: $vgpr16_vgpr17
                                        ; implicit-def: $vgpr12_vgpr13
                                        ; implicit-def: $vgpr24_vgpr25
                                        ; implicit-def: $vgpr4_vgpr5
                                        ; implicit-def: $vgpr8_vgpr9
                                        ; implicit-def: $vgpr48_vgpr49
	s_and_saveexec_b32 s2, vcc_lo
	s_cbranch_execz .LBB0_5
; %bb.4:
	v_lshlrev_b32_e32 v0, 4, v72
	v_lshl_add_u32 v56, v112, 4, v100
	ds_read_b128 v[0:3], v0
	ds_read_b128 v[8:11], v56 offset:320
	ds_read_b128 v[4:7], v56 offset:480
	;; [unrolled: 1-line block ×15, first 2 shown]
.LBB0_5:
	s_or_b32 exec_lo, exec_lo, s2
	s_waitcnt lgkmcnt(8)
	v_add_f64 v[32:33], v[0:1], -v[32:33]
	v_add_f64 v[34:35], v[2:3], -v[34:35]
	s_waitcnt lgkmcnt(4)
	v_add_f64 v[52:53], v[24:25], -v[52:53]
	v_add_f64 v[54:55], v[26:27], -v[54:55]
	;; [unrolled: 1-line block ×4, first 2 shown]
	s_waitcnt lgkmcnt(2)
	v_add_f64 v[60:61], v[20:21], -v[60:61]
	v_add_f64 v[62:63], v[22:23], -v[62:63]
	s_waitcnt lgkmcnt(1)
	v_add_f64 v[28:29], v[48:49], -v[28:29]
	v_add_f64 v[30:31], v[50:51], -v[30:31]
	;; [unrolled: 1-line block ×6, first 2 shown]
	s_waitcnt lgkmcnt(0)
	v_add_f64 v[56:57], v[16:17], -v[56:57]
	v_add_f64 v[58:59], v[18:19], -v[58:59]
	s_mov_b32 s2, 0x667f3bcd
	s_mov_b32 s3, 0xbfe6a09e
	;; [unrolled: 1-line block ×6, first 2 shown]
	v_fma_f64 v[64:65], v[0:1], 2.0, -v[32:33]
	v_fma_f64 v[66:67], v[2:3], 2.0, -v[34:35]
	;; [unrolled: 1-line block ×8, first 2 shown]
	v_add_f64 v[54:55], v[32:33], -v[54:55]
	v_add_f64 v[52:53], v[34:35], v[52:53]
	v_fma_f64 v[20:21], v[48:49], 2.0, -v[28:29]
	v_fma_f64 v[48:49], v[50:51], 2.0, -v[30:31]
	v_add_f64 v[22:23], v[40:41], -v[62:63]
	v_add_f64 v[50:51], v[60:61], v[42:43]
	v_fma_f64 v[12:13], v[12:13], 2.0, -v[44:45]
	v_fma_f64 v[14:15], v[14:15], 2.0, -v[46:47]
	;; [unrolled: 1-line block ×3, first 2 shown]
	v_add_f64 v[46:47], v[28:29], -v[46:47]
	v_fma_f64 v[62:63], v[6:7], 2.0, -v[38:39]
	v_fma_f64 v[4:5], v[18:19], 2.0, -v[58:59]
	;; [unrolled: 1-line block ×3, first 2 shown]
	v_add_f64 v[16:17], v[36:37], -v[58:59]
	v_add_f64 v[44:45], v[44:45], v[30:31]
	v_add_f64 v[18:19], v[56:57], v[38:39]
	v_add_f64 v[56:57], v[64:65], -v[0:1]
	v_add_f64 v[58:59], v[66:67], -v[2:3]
	s_mov_b32 s7, 0xbfd87de2
	s_mov_b32 s9, 0xbfed906b
	;; [unrolled: 1-line block ×3, first 2 shown]
	v_add_f64 v[68:69], v[26:27], -v[10:11]
	v_fma_f64 v[0:1], v[32:33], 2.0, -v[54:55]
	v_fma_f64 v[2:3], v[34:35], 2.0, -v[52:53]
	v_add_f64 v[34:35], v[24:25], -v[8:9]
	s_mov_b32 s18, s8
	v_fma_f64 v[40:41], v[40:41], 2.0, -v[22:23]
	v_fma_f64 v[42:43], v[42:43], 2.0, -v[50:51]
	v_add_f64 v[70:71], v[20:21], -v[12:13]
	v_add_f64 v[73:74], v[48:49], -v[14:15]
	v_fma_f64 v[12:13], v[22:23], s[16:17], v[54:55]
	v_fma_f64 v[8:9], v[28:29], 2.0, -v[46:47]
	v_fma_f64 v[75:76], v[50:51], s[16:17], v[52:53]
	v_add_f64 v[14:15], v[62:63], -v[4:5]
	v_add_f64 v[28:29], v[60:61], -v[6:7]
	v_fma_f64 v[32:33], v[16:17], s[16:17], v[46:47]
	v_fma_f64 v[30:31], v[30:31], 2.0, -v[44:45]
	v_fma_f64 v[77:78], v[18:19], s[16:17], v[44:45]
	v_fma_f64 v[36:37], v[36:37], 2.0, -v[16:17]
	v_fma_f64 v[38:39], v[38:39], 2.0, -v[18:19]
	s_mov_b32 s11, 0x3fd87de2
	s_mov_b32 s10, s6
	v_add_f64 v[4:5], v[56:57], -v[68:69]
	v_fma_f64 v[89:90], v[26:27], 2.0, -v[68:69]
	s_barrier
	v_add_f64 v[10:11], v[58:59], v[34:35]
	buffer_gl0_inv
	v_fma_f64 v[79:80], v[40:41], s[2:3], v[0:1]
	v_fma_f64 v[85:86], v[42:43], s[2:3], v[2:3]
	;; [unrolled: 1-line block ×4, first 2 shown]
	v_add_f64 v[50:51], v[70:71], -v[14:15]
	v_add_f64 v[81:82], v[28:29], v[73:74]
	v_fma_f64 v[83:84], v[18:19], s[2:3], v[32:33]
	v_fma_f64 v[22:23], v[64:65], 2.0, -v[56:57]
	v_fma_f64 v[75:76], v[16:17], s[16:17], v[77:78]
	v_fma_f64 v[77:78], v[36:37], s[2:3], v[8:9]
	;; [unrolled: 1-line block ×3, first 2 shown]
	v_fma_f64 v[32:33], v[66:67], 2.0, -v[58:59]
	v_fma_f64 v[64:65], v[24:25], 2.0, -v[34:35]
	;; [unrolled: 1-line block ×8, first 2 shown]
	v_fma_f64 v[14:15], v[42:43], s[2:3], v[79:80]
	v_fma_f64 v[28:29], v[40:41], s[16:17], v[85:86]
	v_fma_f64 v[18:19], v[54:55], 2.0, -v[6:7]
	v_fma_f64 v[26:27], v[52:53], 2.0, -v[12:13]
	;; [unrolled: 1-line block ×5, first 2 shown]
	v_fma_f64 v[46:47], v[81:82], s[16:17], v[10:11]
	v_fma_f64 v[40:41], v[44:45], 2.0, -v[75:76]
	v_fma_f64 v[66:67], v[38:39], s[2:3], v[77:78]
	v_fma_f64 v[68:69], v[36:37], s[16:17], v[87:88]
	v_add_f64 v[62:63], v[32:33], -v[89:90]
	v_add_f64 v[60:61], v[22:23], -v[64:65]
	v_fma_f64 v[44:45], v[50:51], s[16:17], v[4:5]
	v_fma_f64 v[93:94], v[75:76], s[18:19], v[12:13]
	v_add_f64 v[64:65], v[24:25], -v[48:49]
	v_add_f64 v[70:71], v[34:35], -v[91:92]
	v_fma_f64 v[48:49], v[83:84], s[18:19], v[6:7]
	v_fma_f64 v[77:78], v[42:43], s[2:3], v[16:17]
	;; [unrolled: 1-line block ×9, first 2 shown]
	v_add_f64 v[38:39], v[62:63], v[64:65]
	v_add_f64 v[36:37], v[60:61], -v[70:71]
	v_fma_f64 v[52:53], v[75:76], s[6:7], v[48:49]
	v_fma_f64 v[44:45], v[54:55], s[2:3], v[77:78]
	v_fma_f64 v[46:47], v[42:43], s[16:17], v[79:80]
	v_fma_f64 v[40:41], v[40:41], s[8:9], v[85:86]
	v_fma_f64 v[54:55], v[83:84], s[10:11], v[93:94]
	v_fma_f64 v[42:43], v[73:74], s[18:19], v[87:88]
	v_fma_f64 v[48:49], v[68:69], s[8:9], v[89:90]
	v_fma_f64 v[50:51], v[66:67], s[18:19], v[91:92]
	s_load_dwordx2 s[2:3], s[4:5], 0x8
	s_and_saveexec_b32 s4, vcc_lo
	s_cbranch_execz .LBB0_7
; %bb.6:
	v_fma_f64 v[73:74], v[2:3], 2.0, -v[28:29]
	v_fma_f64 v[30:31], v[30:31], 2.0, -v[68:69]
	;; [unrolled: 1-line block ×14, first 2 shown]
	v_fma_f64 v[24:25], v[30:31], s[8:9], v[73:74]
	v_fma_f64 v[32:33], v[8:9], s[8:9], v[75:76]
	v_add_f64 v[2:3], v[77:78], -v[0:1]
	v_add_f64 v[0:1], v[34:35], -v[22:23]
	v_fma_f64 v[24:25], v[8:9], s[10:11], v[24:25]
	v_fma_f64 v[8:9], v[12:13], 2.0, -v[54:55]
	v_fma_f64 v[22:23], v[30:31], s[6:7], v[32:33]
	v_fma_f64 v[32:33], v[62:63], 2.0, -v[38:39]
	v_fma_f64 v[62:63], v[18:19], 2.0, -v[40:41]
	;; [unrolled: 1-line block ×7, first 2 shown]
	v_add_lshl_u32 v4, v113, v111, 4
	v_fma_f64 v[20:21], v[73:74], 2.0, -v[24:25]
	v_fma_f64 v[18:19], v[75:76], 2.0, -v[22:23]
	ds_write_b128 v4, v[44:47] offset:160
	ds_write_b128 v4, v[40:43] offset:176
	;; [unrolled: 1-line block ×12, first 2 shown]
	ds_write_b128 v4, v[14:17]
	ds_write_b128 v4, v[22:25] offset:144
	ds_write_b128 v4, v[18:21] offset:16
	;; [unrolled: 1-line block ×3, first 2 shown]
.LBB0_7:
	s_or_b32 exec_lo, exec_lo, s4
	s_waitcnt lgkmcnt(0)
	v_mad_u64_u32 v[20:21], null, 0x90, v112, s[2:3]
	s_load_dwordx4 s[4:7], s[0:1], 0x0
	s_waitcnt lgkmcnt(0)
	s_barrier
	buffer_gl0_inv
	v_lshlrev_b32_e32 v114, 4, v72
	s_mov_b32 s0, 0x134454ff
	s_clause 0x8
	global_load_dwordx4 v[4:7], v[20:21], off offset:32
	global_load_dwordx4 v[12:15], v[20:21], off offset:64
	;; [unrolled: 1-line block ×4, first 2 shown]
	global_load_dwordx4 v[0:3], v[20:21], off
	global_load_dwordx4 v[32:35], v[20:21], off offset:16
	global_load_dwordx4 v[28:31], v[20:21], off offset:48
	;; [unrolled: 1-line block ×4, first 2 shown]
	ds_read_b128 v[60:63], v114 offset:768
	ds_read_b128 v[64:67], v114 offset:1280
	;; [unrolled: 1-line block ×9, first 2 shown]
	s_mov_b32 s1, 0x3fee6f0e
	s_mov_b32 s11, 0xbfee6f0e
	;; [unrolled: 1-line block ×3, first 2 shown]
	ds_read_b128 v[96:99], v114
	s_mov_b32 s2, 0x4755a5e
	s_mov_b32 s3, 0x3fe2cf23
	;; [unrolled: 1-line block ×8, first 2 shown]
	s_waitcnt vmcnt(8) lgkmcnt(9)
	v_mul_f64 v[101:102], v[62:63], v[6:7]
	v_mul_f64 v[103:104], v[60:61], v[6:7]
	s_waitcnt vmcnt(7) lgkmcnt(8)
	v_mul_f64 v[105:106], v[66:67], v[14:15]
	v_mul_f64 v[109:110], v[64:65], v[14:15]
	;; [unrolled: 3-line block ×8, first 2 shown]
	s_waitcnt vmcnt(0) lgkmcnt(1)
	v_mul_f64 v[139:140], v[92:93], v[22:23]
	v_fma_f64 v[60:61], v[60:61], v[4:5], -v[101:102]
	v_fma_f64 v[62:63], v[62:63], v[4:5], v[103:104]
	v_fma_f64 v[64:65], v[64:65], v[12:13], -v[105:106]
	v_fma_f64 v[66:67], v[66:67], v[12:13], v[109:110]
	;; [unrolled: 2-line block ×3, first 2 shown]
	v_fma_f64 v[74:75], v[74:75], v[16:17], v[119:120]
	v_fma_f64 v[72:73], v[72:73], v[16:17], -v[121:122]
	v_mul_f64 v[101:102], v[94:95], v[22:23]
	v_fma_f64 v[76:77], v[76:77], v[0:1], -v[123:124]
	v_fma_f64 v[78:79], v[78:79], v[0:1], v[125:126]
	v_fma_f64 v[80:81], v[80:81], v[32:33], -v[127:128]
	v_fma_f64 v[82:83], v[82:83], v[32:33], v[129:130]
	;; [unrolled: 2-line block ×4, first 2 shown]
	v_fma_f64 v[94:95], v[94:95], v[20:21], v[139:140]
	v_add_f64 v[149:150], v[60:61], -v[64:65]
	v_add_f64 v[153:154], v[64:65], -v[60:61]
	v_add_f64 v[103:104], v[64:65], v[68:69]
	v_add_f64 v[105:106], v[66:67], v[70:71]
	v_add_f64 v[109:110], v[62:63], v[74:75]
	v_add_f64 v[115:116], v[60:61], v[72:73]
	v_fma_f64 v[92:93], v[92:93], v[20:21], -v[101:102]
	v_add_f64 v[123:124], v[62:63], -v[74:75]
	v_add_f64 v[125:126], v[66:67], -v[70:71]
	;; [unrolled: 1-line block ×6, first 2 shown]
	v_add_f64 v[117:118], v[84:85], v[88:89]
	v_add_f64 v[143:144], v[86:87], v[90:91]
	;; [unrolled: 1-line block ×3, first 2 shown]
	v_add_f64 v[157:158], v[62:63], -v[66:67]
	v_add_f64 v[159:160], v[74:75], -v[70:71]
	;; [unrolled: 1-line block ×4, first 2 shown]
	s_waitcnt lgkmcnt(0)
	v_add_f64 v[101:102], v[96:97], v[80:81]
	v_add_f64 v[119:120], v[82:83], -v[94:95]
	v_add_f64 v[121:122], v[86:87], -v[90:91]
	;; [unrolled: 1-line block ×3, first 2 shown]
	v_fma_f64 v[103:104], v[103:104], -0.5, v[76:77]
	v_fma_f64 v[105:106], v[105:106], -0.5, v[78:79]
	;; [unrolled: 1-line block ×4, first 2 shown]
	v_add_f64 v[135:136], v[80:81], v[92:93]
	v_add_f64 v[133:134], v[92:93], -v[88:89]
	v_add_f64 v[137:138], v[84:85], -v[80:81]
	;; [unrolled: 1-line block ×3, first 2 shown]
	v_add_f64 v[141:142], v[98:99], v[82:83]
	v_add_f64 v[80:81], v[80:81], -v[92:93]
	v_add_f64 v[145:146], v[84:85], -v[88:89]
	v_add_f64 v[60:61], v[76:77], v[60:61]
	v_add_f64 v[62:63], v[78:79], v[62:63]
	v_fma_f64 v[78:79], v[117:118], -0.5, v[96:97]
	v_fma_f64 v[117:118], v[143:144], -0.5, v[98:99]
	;; [unrolled: 1-line block ×3, first 2 shown]
	v_add_f64 v[143:144], v[153:154], v[155:156]
	v_add_f64 v[147:148], v[157:158], v[159:160]
	v_add_f64 v[173:174], v[82:83], -v[86:87]
	v_add_f64 v[175:176], v[94:95], -v[90:91]
	;; [unrolled: 1-line block ×4, first 2 shown]
	v_fma_f64 v[171:172], v[123:124], s[10:11], v[103:104]
	v_fma_f64 v[165:166], v[127:128], s[10:11], v[105:106]
	;; [unrolled: 1-line block ×8, first 2 shown]
	v_fma_f64 v[96:97], v[135:136], -0.5, v[96:97]
	v_add_f64 v[135:136], v[149:150], v[151:152]
	v_add_f64 v[149:150], v[161:162], v[163:164]
	;; [unrolled: 1-line block ×7, first 2 shown]
	v_fma_f64 v[64:65], v[119:120], s[0:1], v[78:79]
	v_fma_f64 v[66:67], v[119:120], s[10:11], v[78:79]
	v_add_f64 v[76:77], v[82:83], v[76:77]
	v_fma_f64 v[157:158], v[125:126], s[16:17], v[171:172]
	v_fma_f64 v[151:152], v[129:130], s[16:17], v[165:166]
	;; [unrolled: 1-line block ×8, first 2 shown]
	v_add_f64 v[123:124], v[137:138], v[139:140]
	v_fma_f64 v[78:79], v[121:122], s[10:11], v[96:97]
	v_fma_f64 v[96:97], v[121:122], s[0:1], v[96:97]
	;; [unrolled: 1-line block ×6, first 2 shown]
	v_add_f64 v[82:83], v[84:85], v[88:89]
	v_add_f64 v[84:85], v[86:87], v[90:91]
	;; [unrolled: 1-line block ×4, first 2 shown]
	v_fma_f64 v[64:65], v[121:122], s[2:3], v[64:65]
	v_fma_f64 v[66:67], v[121:122], s[16:17], v[66:67]
	;; [unrolled: 1-line block ×10, first 2 shown]
	v_add_f64 v[135:136], v[173:174], v[175:176]
	v_fma_f64 v[68:69], v[119:120], s[2:3], v[78:79]
	v_fma_f64 v[70:71], v[119:120], s[16:17], v[96:97]
	;; [unrolled: 1-line block ×6, first 2 shown]
	v_add_f64 v[82:83], v[82:83], v[92:93]
	v_add_f64 v[84:85], v[84:85], v[94:95]
	;; [unrolled: 1-line block ×4, first 2 shown]
	v_fma_f64 v[92:93], v[101:102], s[8:9], v[64:65]
	v_fma_f64 v[94:95], v[101:102], s[8:9], v[66:67]
	v_mul_f64 v[117:118], v[137:138], s[18:19]
	v_mul_f64 v[90:91], v[129:130], s[2:3]
	;; [unrolled: 1-line block ×8, first 2 shown]
	v_fma_f64 v[101:102], v[123:124], s[8:9], v[68:69]
	v_fma_f64 v[123:124], v[123:124], s[8:9], v[70:71]
	;; [unrolled: 1-line block ×6, first 2 shown]
	v_add_f64 v[60:61], v[82:83], v[72:73]
	v_add_f64 v[62:63], v[84:85], v[74:75]
	v_add_f64 v[76:77], v[82:83], -v[72:73]
	v_add_f64 v[78:79], v[84:85], -v[74:75]
	v_fma_f64 v[86:87], v[103:104], s[18:19], v[90:91]
	v_fma_f64 v[88:89], v[115:116], s[8:9], v[96:97]
	v_fma_f64 v[90:91], v[109:110], s[0:1], -v[98:99]
	v_fma_f64 v[96:97], v[105:106], s[2:3], -v[117:118]
	v_fma_f64 v[98:99], v[129:130], s[18:19], v[119:120]
	v_fma_f64 v[103:104], v[131:132], s[8:9], v[121:122]
	v_fma_f64 v[105:106], v[133:134], s[10:11], -v[125:126]
	v_fma_f64 v[109:110], v[137:138], s[16:17], -v[127:128]
	v_lshl_add_u32 v115, v112, 4, v100
	v_add_f64 v[64:65], v[92:93], v[86:87]
	v_add_f64 v[68:69], v[101:102], v[88:89]
	;; [unrolled: 1-line block ×8, first 2 shown]
	v_add_f64 v[84:85], v[92:93], -v[86:87]
	v_add_f64 v[88:89], v[101:102], -v[88:89]
	;; [unrolled: 1-line block ×8, first 2 shown]
	ds_write_b128 v114, v[60:63]
	ds_write_b128 v114, v[64:67] offset:256
	ds_write_b128 v115, v[68:71] offset:512
	;; [unrolled: 1-line block ×9, first 2 shown]
	s_waitcnt lgkmcnt(0)
	s_barrier
	buffer_gl0_inv
	s_and_saveexec_b32 s1, vcc_lo
	s_cbranch_execz .LBB0_9
; %bb.8:
	v_add_co_u32 v116, s0, s12, v111
	v_add_co_ci_u32_e64 v117, null, s13, 0, s0
	v_add_co_u32 v100, s0, 0x800, v116
	v_add_co_ci_u32_e64 v101, s0, 0, v117, s0
	v_add_co_u32 v109, s0, 0xa00, v116
	v_add_co_ci_u32_e64 v110, s0, 0, v117, s0
	global_load_dwordx4 v[100:103], v[100:101], off offset:512
	v_add_co_u32 v172, s0, 0x1000, v116
	s_clause 0x3
	global_load_dwordx4 v[104:107], v[109:110], off offset:160
	global_load_dwordx4 v[118:121], v[109:110], off offset:320
	;; [unrolled: 1-line block ×4, first 2 shown]
	ds_read_b128 v[130:133], v114
	v_add_co_ci_u32_e64 v173, s0, 0, v117, s0
	global_load_dwordx4 v[134:137], v[172:173], off offset:544
	s_waitcnt vmcnt(5) lgkmcnt(0)
	v_mul_f64 v[116:117], v[132:133], v[102:103]
	v_mul_f64 v[102:103], v[130:131], v[102:103]
	v_fma_f64 v[130:131], v[130:131], v[100:101], -v[116:117]
	v_fma_f64 v[132:133], v[132:133], v[100:101], v[102:103]
	ds_write_b128 v114, v[130:133]
	ds_read_b128 v[100:103], v115 offset:160
	ds_read_b128 v[130:133], v115 offset:320
	s_waitcnt vmcnt(4) lgkmcnt(1)
	v_mul_f64 v[116:117], v[102:103], v[106:107]
	v_mul_f64 v[106:107], v[100:101], v[106:107]
	s_waitcnt vmcnt(3) lgkmcnt(0)
	v_mul_f64 v[138:139], v[132:133], v[120:121]
	v_mul_f64 v[120:121], v[130:131], v[120:121]
	v_fma_f64 v[100:101], v[100:101], v[104:105], -v[116:117]
	v_fma_f64 v[102:103], v[102:103], v[104:105], v[106:107]
	ds_read_b128 v[104:107], v115 offset:480
	v_fma_f64 v[116:117], v[130:131], v[118:119], -v[138:139]
	v_fma_f64 v[118:119], v[132:133], v[118:119], v[120:121]
	ds_read_b128 v[130:133], v115 offset:640
	s_waitcnt vmcnt(2) lgkmcnt(1)
	v_mul_f64 v[120:121], v[106:107], v[124:125]
	v_mul_f64 v[124:125], v[104:105], v[124:125]
	s_waitcnt vmcnt(1) lgkmcnt(0)
	v_mul_f64 v[138:139], v[132:133], v[128:129]
	v_mul_f64 v[128:129], v[130:131], v[128:129]
	v_fma_f64 v[104:105], v[104:105], v[122:123], -v[120:121]
	v_fma_f64 v[106:107], v[106:107], v[122:123], v[124:125]
	global_load_dwordx4 v[120:123], v[109:110], off offset:800
	v_fma_f64 v[124:125], v[130:131], v[126:127], -v[138:139]
	v_fma_f64 v[126:127], v[132:133], v[126:127], v[128:129]
	global_load_dwordx4 v[128:131], v[109:110], off offset:960
	ds_read_b128 v[138:141], v115 offset:800
	ds_read_b128 v[142:145], v115 offset:960
	s_waitcnt vmcnt(1) lgkmcnt(1)
	v_mul_f64 v[132:133], v[140:141], v[122:123]
	v_mul_f64 v[122:123], v[138:139], v[122:123]
	v_fma_f64 v[138:139], v[138:139], v[120:121], -v[132:133]
	v_fma_f64 v[140:141], v[140:141], v[120:121], v[122:123]
	s_waitcnt vmcnt(0) lgkmcnt(0)
	v_mul_f64 v[120:121], v[144:145], v[130:131]
	v_mul_f64 v[122:123], v[142:143], v[130:131]
	v_fma_f64 v[120:121], v[142:143], v[128:129], -v[120:121]
	v_fma_f64 v[122:123], v[144:145], v[128:129], v[122:123]
	s_clause 0x1
	global_load_dwordx4 v[128:131], v[109:110], off offset:1120
	global_load_dwordx4 v[142:145], v[109:110], off offset:1280
	ds_read_b128 v[146:149], v115 offset:1120
	ds_read_b128 v[150:153], v115 offset:1280
	s_waitcnt vmcnt(1) lgkmcnt(1)
	v_mul_f64 v[132:133], v[148:149], v[130:131]
	v_mul_f64 v[154:155], v[146:147], v[130:131]
	v_fma_f64 v[130:131], v[146:147], v[128:129], -v[132:133]
	v_fma_f64 v[132:133], v[148:149], v[128:129], v[154:155]
	s_waitcnt vmcnt(0) lgkmcnt(0)
	v_mul_f64 v[128:129], v[152:153], v[144:145]
	v_mul_f64 v[146:147], v[150:151], v[144:145]
	v_fma_f64 v[144:145], v[150:151], v[142:143], -v[128:129]
	v_fma_f64 v[146:147], v[152:153], v[142:143], v[146:147]
	s_clause 0x1
	global_load_dwordx4 v[148:151], v[109:110], off offset:1440
	;; [unrolled: 15-line block ×3, first 2 shown]
	global_load_dwordx4 v[160:163], v[109:110], off offset:1920
	ds_read_b128 v[164:167], v115 offset:1760
	ds_read_b128 v[168:171], v115 offset:1920
	s_waitcnt vmcnt(1) lgkmcnt(1)
	v_mul_f64 v[109:110], v[166:167], v[154:155]
	v_mul_f64 v[128:129], v[164:165], v[154:155]
	v_fma_f64 v[164:165], v[164:165], v[152:153], -v[109:110]
	v_fma_f64 v[166:167], v[166:167], v[152:153], v[128:129]
	s_waitcnt vmcnt(0) lgkmcnt(0)
	v_mul_f64 v[109:110], v[170:171], v[162:163]
	v_mul_f64 v[128:129], v[168:169], v[162:163]
	v_fma_f64 v[152:153], v[168:169], v[160:161], -v[109:110]
	v_fma_f64 v[154:155], v[170:171], v[160:161], v[128:129]
	ds_read_b128 v[160:163], v115 offset:2080
	ds_read_b128 v[168:171], v115 offset:2240
	s_waitcnt lgkmcnt(1)
	v_mul_f64 v[109:110], v[162:163], v[136:137]
	v_mul_f64 v[128:129], v[160:161], v[136:137]
	v_fma_f64 v[160:161], v[160:161], v[134:135], -v[109:110]
	v_fma_f64 v[162:163], v[162:163], v[134:135], v[128:129]
	s_clause 0x1
	global_load_dwordx4 v[134:137], v[172:173], off offset:704
	global_load_dwordx4 v[172:175], v[172:173], off offset:864
	s_waitcnt vmcnt(1) lgkmcnt(0)
	v_mul_f64 v[109:110], v[170:171], v[136:137]
	v_mul_f64 v[128:129], v[168:169], v[136:137]
	v_fma_f64 v[168:169], v[168:169], v[134:135], -v[109:110]
	v_fma_f64 v[170:171], v[170:171], v[134:135], v[128:129]
	ds_read_b128 v[134:137], v115 offset:2400
	s_waitcnt vmcnt(0) lgkmcnt(0)
	v_mul_f64 v[109:110], v[136:137], v[174:175]
	v_mul_f64 v[128:129], v[134:135], v[174:175]
	v_fma_f64 v[134:135], v[134:135], v[172:173], -v[109:110]
	v_fma_f64 v[136:137], v[136:137], v[172:173], v[128:129]
	ds_write_b128 v115, v[100:103] offset:160
	ds_write_b128 v115, v[116:119] offset:320
	;; [unrolled: 1-line block ×15, first 2 shown]
.LBB0_9:
	s_or_b32 exec_lo, exec_lo, s1
	s_waitcnt lgkmcnt(0)
	s_barrier
	buffer_gl0_inv
	s_and_saveexec_b32 s0, vcc_lo
	s_cbranch_execz .LBB0_11
; %bb.10:
	ds_read_b128 v[60:63], v114
	ds_read_b128 v[64:67], v115 offset:160
	ds_read_b128 v[68:71], v115 offset:320
	;; [unrolled: 1-line block ×15, first 2 shown]
.LBB0_11:
	s_or_b32 exec_lo, exec_lo, s0
	s_waitcnt lgkmcnt(0)
	s_barrier
	buffer_gl0_inv
	s_and_saveexec_b32 s10, vcc_lo
	s_cbranch_execz .LBB0_13
; %bb.12:
	v_add_f64 v[46:47], v[70:71], -v[46:47]
	v_add_f64 v[56:57], v[84:85], -v[56:57]
	;; [unrolled: 1-line block ×16, first 2 shown]
	s_mov_b32 s0, 0x667f3bcd
	s_mov_b32 s1, 0x3fe6a09e
	;; [unrolled: 1-line block ×6, first 2 shown]
	v_fma_f64 v[70:71], v[70:71], 2.0, -v[46:47]
	v_add_f64 v[100:101], v[46:47], -v[56:57]
	v_fma_f64 v[62:63], v[62:63], 2.0, -v[94:95]
	v_add_f64 v[102:103], v[94:95], -v[36:37]
	v_fma_f64 v[36:37], v[80:81], 2.0, -v[36:37]
	v_add_f64 v[104:105], v[58:59], v[44:45]
	v_fma_f64 v[68:69], v[68:69], 2.0, -v[44:45]
	v_add_f64 v[106:107], v[42:43], -v[52:53]
	v_fma_f64 v[52:53], v[88:89], 2.0, -v[52:53]
	v_add_f64 v[109:110], v[98:99], -v[48:49]
	v_fma_f64 v[58:59], v[86:87], 2.0, -v[58:59]
	v_add_f64 v[116:117], v[54:55], v[40:41]
	v_fma_f64 v[72:73], v[72:73], 2.0, -v[40:41]
	v_add_f64 v[118:119], v[50:51], v[96:97]
	;; [unrolled: 2-line block ×3, first 2 shown]
	v_fma_f64 v[38:39], v[82:83], 2.0, -v[38:39]
	v_fma_f64 v[48:49], v[76:77], 2.0, -v[48:49]
	;; [unrolled: 1-line block ×10, first 2 shown]
	v_fma_f64 v[84:85], v[100:101], s[0:1], v[102:103]
	v_fma_f64 v[44:45], v[44:45], 2.0, -v[104:105]
	s_mov_b32 s16, 0xa6aea964
	v_fma_f64 v[42:43], v[42:43], 2.0, -v[106:107]
	s_mov_b32 s17, 0xbfd87de2
	v_fma_f64 v[78:79], v[98:99], 2.0, -v[109:110]
	v_add_f64 v[58:59], v[70:71], -v[58:59]
	v_fma_f64 v[40:41], v[40:41], 2.0, -v[116:117]
	v_add_f64 v[52:53], v[72:73], -v[52:53]
	v_fma_f64 v[80:81], v[96:97], 2.0, -v[118:119]
	v_fma_f64 v[86:87], v[106:107], s[0:1], v[109:110]
	v_fma_f64 v[82:83], v[92:93], 2.0, -v[120:121]
	v_add_f64 v[38:39], v[62:63], -v[38:39]
	v_add_f64 v[48:49], v[64:65], -v[48:49]
	;; [unrolled: 1-line block ×4, first 2 shown]
	v_fma_f64 v[88:89], v[116:117], s[0:1], v[118:119]
	v_add_f64 v[50:51], v[66:67], -v[50:51]
	v_fma_f64 v[90:91], v[104:105], s[0:1], v[120:121]
	v_add_f64 v[54:55], v[74:75], -v[54:55]
	s_mov_b32 s19, 0x3fd87de2
	v_fma_f64 v[92:93], v[46:47], s[2:3], v[76:77]
	v_fma_f64 v[84:85], v[104:105], s[2:3], v[84:85]
	s_mov_b32 s18, s16
	s_mov_b32 s21, 0xbfed906b
	;; [unrolled: 1-line block ×3, first 2 shown]
	v_fma_f64 v[94:95], v[42:43], s[2:3], v[78:79]
	v_fma_f64 v[70:71], v[70:71], 2.0, -v[58:59]
	v_fma_f64 v[72:73], v[72:73], 2.0, -v[52:53]
	v_fma_f64 v[96:97], v[40:41], s[2:3], v[80:81]
	v_fma_f64 v[86:87], v[116:117], s[2:3], v[86:87]
	;; [unrolled: 1-line block ×3, first 2 shown]
	v_fma_f64 v[62:63], v[62:63], 2.0, -v[38:39]
	v_fma_f64 v[64:65], v[64:65], 2.0, -v[48:49]
	;; [unrolled: 1-line block ×4, first 2 shown]
	v_add_f64 v[104:105], v[38:39], -v[56:57]
	v_fma_f64 v[56:57], v[66:67], 2.0, -v[50:51]
	v_add_f64 v[52:53], v[50:51], -v[52:53]
	v_fma_f64 v[66:67], v[74:75], 2.0, -v[54:55]
	v_fma_f64 v[74:75], v[106:107], s[0:1], v[88:89]
	v_fma_f64 v[88:89], v[100:101], s[0:1], v[90:91]
	v_add_f64 v[54:55], v[54:55], v[48:49]
	v_add_f64 v[90:91], v[36:37], v[58:59]
	v_fma_f64 v[92:93], v[44:45], s[2:3], v[92:93]
	v_fma_f64 v[100:101], v[102:103], 2.0, -v[84:85]
	v_fma_f64 v[94:95], v[40:41], s[2:3], v[94:95]
	v_fma_f64 v[58:59], v[42:43], s[0:1], v[96:97]
	;; [unrolled: 1-line block ×3, first 2 shown]
	v_add_f64 v[98:99], v[62:63], -v[70:71]
	v_add_f64 v[40:41], v[64:65], -v[72:73]
	v_fma_f64 v[70:71], v[109:110], 2.0, -v[86:87]
	v_add_f64 v[68:69], v[60:61], -v[68:69]
	v_fma_f64 v[102:103], v[38:39], 2.0, -v[104:105]
	v_fma_f64 v[72:73], v[50:51], 2.0, -v[52:53]
	v_add_f64 v[44:45], v[56:57], -v[66:67]
	v_fma_f64 v[66:67], v[118:119], 2.0, -v[74:75]
	v_fma_f64 v[106:107], v[120:121], 2.0, -v[88:89]
	;; [unrolled: 1-line block ×5, first 2 shown]
	v_fma_f64 v[42:43], v[52:53], s[0:1], v[104:105]
	v_fma_f64 v[36:37], v[86:87], s[8:9], v[84:85]
	v_fma_f64 v[76:77], v[78:79], 2.0, -v[94:95]
	v_fma_f64 v[50:51], v[74:75], s[8:9], v[88:89]
	v_fma_f64 v[78:79], v[80:81], 2.0, -v[58:59]
	;; [unrolled: 2-line block ×5, first 2 shown]
	v_fma_f64 v[60:61], v[64:65], 2.0, -v[40:41]
	v_fma_f64 v[130:131], v[58:59], s[18:19], v[96:97]
	v_fma_f64 v[122:123], v[72:73], s[2:3], v[102:103]
	v_fma_f64 v[56:57], v[56:57], 2.0, -v[44:45]
	v_add_f64 v[46:47], v[98:99], -v[40:41]
	v_fma_f64 v[128:129], v[66:67], s[16:17], v[106:107]
	v_add_f64 v[44:45], v[68:69], v[44:45]
	v_fma_f64 v[64:65], v[48:49], s[2:3], v[109:110]
	v_fma_f64 v[42:43], v[54:55], s[2:3], v[42:43]
	;; [unrolled: 1-line block ×9, first 2 shown]
	v_add_f64 v[60:61], v[126:127], -v[60:61]
	v_fma_f64 v[58:59], v[48:49], s[2:3], v[122:123]
	v_add_f64 v[62:63], v[124:125], -v[56:57]
	v_fma_f64 v[48:49], v[94:95], s[8:9], v[130:131]
	v_fma_f64 v[52:53], v[70:71], s[8:9], v[128:129]
	;; [unrolled: 1-line block ×3, first 2 shown]
	v_fma_f64 v[74:75], v[104:105], 2.0, -v[42:43]
	v_fma_f64 v[70:71], v[84:85], 2.0, -v[38:39]
	v_fma_f64 v[66:67], v[78:79], s[16:17], v[132:133]
	v_fma_f64 v[78:79], v[98:99], 2.0, -v[46:47]
	v_fma_f64 v[72:73], v[90:91], 2.0, -v[40:41]
	v_fma_f64 v[64:65], v[76:77], s[18:19], v[134:135]
	v_fma_f64 v[76:77], v[68:69], 2.0, -v[44:45]
	v_fma_f64 v[68:69], v[88:89], 2.0, -v[36:37]
	;; [unrolled: 1-line block ×5, first 2 shown]
	v_add_lshl_u32 v100, v113, v111, 4
	v_fma_f64 v[90:91], v[102:103], 2.0, -v[58:59]
	v_fma_f64 v[94:95], v[124:125], 2.0, -v[62:63]
	;; [unrolled: 1-line block ×7, first 2 shown]
	ds_write_b128 v100, v[44:47] offset:192
	ds_write_b128 v100, v[40:43] offset:224
	;; [unrolled: 1-line block ×9, first 2 shown]
	ds_write_b128 v100, v[92:95]
	ds_write_b128 v100, v[88:91] offset:32
	ds_write_b128 v100, v[84:87] offset:48
	;; [unrolled: 1-line block ×6, first 2 shown]
.LBB0_13:
	s_or_b32 exec_lo, exec_lo, s10
	s_waitcnt lgkmcnt(0)
	s_barrier
	buffer_gl0_inv
	ds_read_b128 v[36:39], v114 offset:768
	ds_read_b128 v[40:43], v114 offset:1280
	;; [unrolled: 1-line block ×9, first 2 shown]
	ds_read_b128 v[72:75], v114
	s_mov_b32 s8, 0x134454ff
	s_mov_b32 s9, 0xbfee6f0e
	;; [unrolled: 1-line block ×10, first 2 shown]
	s_waitcnt lgkmcnt(9)
	v_mul_f64 v[76:77], v[6:7], v[36:37]
	s_waitcnt lgkmcnt(8)
	v_mul_f64 v[78:79], v[14:15], v[40:41]
	;; [unrolled: 2-line block ×5, first 2 shown]
	v_mul_f64 v[6:7], v[6:7], v[38:39]
	v_mul_f64 v[14:15], v[14:15], v[42:43]
	;; [unrolled: 1-line block ×4, first 2 shown]
	s_waitcnt lgkmcnt(4)
	v_mul_f64 v[86:87], v[34:35], v[58:59]
	v_mul_f64 v[34:35], v[34:35], v[56:57]
	s_waitcnt lgkmcnt(1)
	v_mul_f64 v[92:93], v[22:23], v[68:69]
	v_mul_f64 v[22:23], v[22:23], v[70:71]
	;; [unrolled: 1-line block ×7, first 2 shown]
	s_mov_b32 s18, 0x9b97f4a8
	s_mov_b32 s19, 0x3fe9e377
	;; [unrolled: 1-line block ×4, first 2 shown]
	v_fma_f64 v[38:39], v[4:5], v[38:39], -v[76:77]
	v_fma_f64 v[42:43], v[12:13], v[42:43], -v[78:79]
	v_fma_f64 v[46:47], v[8:9], v[46:47], -v[80:81]
	v_fma_f64 v[50:51], v[16:17], v[50:51], -v[82:83]
	s_mov_b32 s23, 0xbfe9e377
	v_fma_f64 v[4:5], v[4:5], v[36:37], v[6:7]
	v_fma_f64 v[12:13], v[12:13], v[40:41], v[14:15]
	;; [unrolled: 1-line block ×4, first 2 shown]
	v_fma_f64 v[16:17], v[0:1], v[54:55], -v[84:85]
	v_fma_f64 v[56:57], v[32:33], v[56:57], v[86:87]
	v_fma_f64 v[32:33], v[32:33], v[58:59], -v[34:35]
	v_fma_f64 v[34:35], v[20:21], v[70:71], -v[92:93]
	v_fma_f64 v[14:15], v[20:21], v[68:69], v[22:23]
	v_fma_f64 v[6:7], v[28:29], v[60:61], v[88:89]
	v_fma_f64 v[28:29], v[28:29], v[62:63], -v[30:31]
	v_fma_f64 v[30:31], v[24:25], v[64:65], v[90:91]
	v_fma_f64 v[24:25], v[24:25], v[66:67], -v[26:27]
	v_fma_f64 v[0:1], v[0:1], v[52:53], v[2:3]
	s_mov_b32 s22, s18
	v_add_f64 v[84:85], v[38:39], -v[42:43]
	v_add_f64 v[18:19], v[42:43], v[46:47]
	v_add_f64 v[20:21], v[38:39], v[50:51]
	v_add_f64 v[82:83], v[38:39], -v[50:51]
	v_add_f64 v[86:87], v[50:51], -v[46:47]
	;; [unrolled: 1-line block ×3, first 2 shown]
	v_add_f64 v[48:49], v[12:13], v[8:9]
	v_add_f64 v[52:53], v[4:5], v[10:11]
	v_add_f64 v[54:55], v[4:5], -v[10:11]
	v_add_f64 v[58:59], v[12:13], -v[8:9]
	s_waitcnt lgkmcnt(0)
	v_add_f64 v[2:3], v[72:73], v[56:57]
	v_add_f64 v[80:81], v[32:33], v[34:35]
	;; [unrolled: 1-line block ×3, first 2 shown]
	v_add_f64 v[40:41], v[56:57], -v[6:7]
	v_add_f64 v[88:89], v[42:43], -v[38:39]
	v_add_f64 v[22:23], v[6:7], v[30:31]
	v_add_f64 v[44:45], v[14:15], -v[30:31]
	v_add_f64 v[68:69], v[28:29], v[24:25]
	;; [unrolled: 2-line block ×3, first 2 shown]
	v_add_f64 v[26:27], v[32:33], -v[34:35]
	v_add_f64 v[36:37], v[28:29], -v[24:25]
	;; [unrolled: 1-line block ×3, first 2 shown]
	v_fma_f64 v[18:19], v[18:19], -0.5, v[16:17]
	v_fma_f64 v[20:21], v[20:21], -0.5, v[16:17]
	v_add_f64 v[16:17], v[16:17], v[38:39]
	v_add_f64 v[64:65], v[30:31], -v[14:15]
	v_add_f64 v[56:57], v[56:57], -v[14:15]
	v_fma_f64 v[48:49], v[48:49], -0.5, v[0:1]
	v_fma_f64 v[52:53], v[52:53], -0.5, v[0:1]
	v_add_f64 v[0:1], v[0:1], v[4:5]
	v_add_f64 v[70:71], v[6:7], -v[30:31]
	v_add_f64 v[100:101], v[4:5], -v[12:13]
	;; [unrolled: 1-line block ×3, first 2 shown]
	v_add_f64 v[2:3], v[2:3], v[6:7]
	v_fma_f64 v[6:7], v[60:61], -0.5, v[72:73]
	v_add_f64 v[60:61], v[84:85], v[86:87]
	v_fma_f64 v[22:23], v[22:23], -0.5, v[72:73]
	;; [unrolled: 2-line block ×3, first 2 shown]
	v_fma_f64 v[44:45], v[80:81], -0.5, v[74:75]
	v_add_f64 v[4:5], v[12:13], -v[4:5]
	v_add_f64 v[104:105], v[8:9], -v[10:11]
	v_add_f64 v[68:69], v[88:89], v[90:91]
	v_add_f64 v[76:77], v[32:33], -v[28:29]
	v_fma_f64 v[96:97], v[54:55], s[2:3], v[18:19]
	v_fma_f64 v[98:99], v[58:59], s[8:9], v[20:21]
	;; [unrolled: 1-line block ×4, first 2 shown]
	v_add_f64 v[32:33], v[28:29], -v[32:33]
	v_fma_f64 v[72:73], v[82:83], s[8:9], v[48:49]
	v_fma_f64 v[74:75], v[92:93], s[2:3], v[52:53]
	;; [unrolled: 1-line block ×4, first 2 shown]
	v_add_f64 v[28:29], v[66:67], v[28:29]
	v_add_f64 v[0:1], v[0:1], v[12:13]
	;; [unrolled: 1-line block ×3, first 2 shown]
	v_add_f64 v[78:79], v[34:35], -v[24:25]
	v_add_f64 v[94:95], v[24:25], -v[34:35]
	v_add_f64 v[12:13], v[100:101], v[102:103]
	v_fma_f64 v[42:43], v[26:27], s[8:9], v[22:23]
	v_fma_f64 v[22:23], v[26:27], s[2:3], v[22:23]
	v_add_f64 v[2:3], v[2:3], v[30:31]
	v_add_f64 v[4:5], v[4:5], v[104:105]
	v_fma_f64 v[80:81], v[58:59], s[16:17], v[96:97]
	v_fma_f64 v[84:85], v[54:55], s[16:17], v[98:99]
	v_fma_f64 v[20:21], v[54:55], s[10:11], v[20:21]
	v_fma_f64 v[18:19], v[58:59], s[10:11], v[18:19]
	v_add_f64 v[54:55], v[62:63], v[64:65]
	v_fma_f64 v[58:59], v[36:37], s[2:3], v[6:7]
	v_fma_f64 v[6:7], v[36:37], s[8:9], v[6:7]
	;; [unrolled: 1-line block ×10, first 2 shown]
	v_add_f64 v[24:25], v[28:29], v[24:25]
	v_add_f64 v[0:1], v[0:1], v[8:9]
	;; [unrolled: 1-line block ×4, first 2 shown]
	v_fma_f64 v[16:17], v[36:37], s[10:11], v[42:43]
	v_fma_f64 v[22:23], v[36:37], s[16:17], v[22:23]
	v_add_f64 v[14:15], v[2:3], v[14:15]
	v_fma_f64 v[74:75], v[60:61], s[0:1], v[80:81]
	v_fma_f64 v[80:81], v[68:69], s[0:1], v[84:85]
	v_fma_f64 v[20:21], v[68:69], s[0:1], v[20:21]
	v_fma_f64 v[18:19], v[60:61], s[0:1], v[18:19]
	v_add_f64 v[60:61], v[76:77], v[78:79]
	v_fma_f64 v[28:29], v[26:27], s[10:11], v[58:59]
	v_fma_f64 v[6:7], v[26:27], s[16:17], v[6:7]
	;; [unrolled: 1-line block ×10, first 2 shown]
	v_add_f64 v[24:25], v[24:25], v[34:35]
	v_add_f64 v[10:11], v[0:1], v[10:11]
	;; [unrolled: 1-line block ×3, first 2 shown]
	v_fma_f64 v[34:35], v[38:39], s[0:1], v[16:17]
	v_fma_f64 v[38:39], v[38:39], s[0:1], v[22:23]
	v_mul_f64 v[46:47], v[74:75], s[10:11]
	v_mul_f64 v[58:59], v[74:75], s[18:19]
	;; [unrolled: 1-line block ×8, first 2 shown]
	v_fma_f64 v[28:29], v[54:55], s[0:1], v[28:29]
	v_fma_f64 v[50:51], v[54:55], s[0:1], v[6:7]
	v_fma_f64 v[26:27], v[60:61], s[0:1], v[26:27]
	v_fma_f64 v[54:55], v[60:61], s[0:1], v[30:31]
	v_fma_f64 v[30:31], v[32:33], s[0:1], v[36:37]
	v_fma_f64 v[40:41], v[32:33], s[0:1], v[40:41]
	v_add_f64 v[0:1], v[14:15], v[10:11]
	v_add_f64 v[2:3], v[24:25], v[8:9]
	v_add_f64 v[6:7], v[24:25], -v[8:9]
	v_fma_f64 v[32:33], v[42:43], s[18:19], v[46:47]
	v_fma_f64 v[42:43], v[42:43], s[16:17], v[58:59]
	;; [unrolled: 1-line block ×8, first 2 shown]
	v_add_f64 v[4:5], v[14:15], -v[10:11]
	v_add_f64 v[8:9], v[34:35], v[32:33]
	v_add_f64 v[10:11], v[26:27], v[42:43]
	;; [unrolled: 1-line block ×8, first 2 shown]
	v_add_f64 v[24:25], v[34:35], -v[32:33]
	v_add_f64 v[26:27], v[26:27], -v[42:43]
	;; [unrolled: 1-line block ×8, first 2 shown]
	ds_write_b128 v114, v[0:3]
	ds_write_b128 v114, v[8:11] offset:256
	ds_write_b128 v115, v[12:15] offset:512
	;; [unrolled: 1-line block ×9, first 2 shown]
	s_waitcnt lgkmcnt(0)
	s_barrier
	buffer_gl0_inv
	s_and_b32 exec_lo, exec_lo, vcc_lo
	s_cbranch_execz .LBB0_15
; %bb.14:
	s_clause 0xb
	global_load_dwordx4 v[0:3], v111, s[12:13]
	global_load_dwordx4 v[4:7], v111, s[12:13] offset:160
	global_load_dwordx4 v[8:11], v111, s[12:13] offset:320
	;; [unrolled: 1-line block ×11, first 2 shown]
	v_mad_u64_u32 v[48:49], null, s6, v108, 0
	v_mad_u64_u32 v[50:51], null, s4, v112, 0
	s_mul_i32 s0, s5, 0xa0
	s_mul_hi_u32 s3, s4, 0xa0
	s_mul_i32 s2, s4, 0xa0
	s_add_i32 s3, s3, s0
	s_mov_b32 s0, 0x9999999a
	s_mov_b32 s1, 0x3f799999
	v_mad_u64_u32 v[52:53], null, s7, v108, v[49:50]
	v_mad_u64_u32 v[53:54], null, s5, v112, v[51:52]
	v_mov_b32_e32 v49, v52
	v_lshlrev_b64 v[48:49], 4, v[48:49]
	v_mov_b32_e32 v51, v53
	v_add_co_u32 v48, vcc_lo, s14, v48
	v_lshlrev_b64 v[50:51], 4, v[50:51]
	v_add_co_ci_u32_e32 v49, vcc_lo, s15, v49, vcc_lo
	v_add_co_u32 v96, vcc_lo, v48, v50
	v_add_co_ci_u32_e32 v97, vcc_lo, v49, v51, vcc_lo
	ds_read_b128 v[48:51], v114
	ds_read_b128 v[52:55], v115 offset:160
	ds_read_b128 v[56:59], v115 offset:320
	;; [unrolled: 1-line block ×11, first 2 shown]
	v_add_co_u32 v98, vcc_lo, v96, s2
	v_add_co_ci_u32_e32 v99, vcc_lo, s3, v97, vcc_lo
	v_add_co_u32 v100, vcc_lo, v98, s2
	v_add_co_ci_u32_e32 v101, vcc_lo, s3, v99, vcc_lo
	;; [unrolled: 2-line block ×9, first 2 shown]
	s_waitcnt vmcnt(11) lgkmcnt(11)
	v_mul_f64 v[120:121], v[50:51], v[2:3]
	v_mul_f64 v[2:3], v[48:49], v[2:3]
	s_waitcnt vmcnt(10) lgkmcnt(10)
	v_mul_f64 v[122:123], v[54:55], v[6:7]
	v_mul_f64 v[6:7], v[52:53], v[6:7]
	s_waitcnt vmcnt(9) lgkmcnt(9)
	v_mul_f64 v[124:125], v[58:59], v[10:11]
	v_mul_f64 v[10:11], v[56:57], v[10:11]
	s_waitcnt vmcnt(8) lgkmcnt(8)
	v_mul_f64 v[126:127], v[62:63], v[14:15]
	v_mul_f64 v[14:15], v[60:61], v[14:15]
	s_waitcnt vmcnt(7) lgkmcnt(7)
	v_mul_f64 v[128:129], v[66:67], v[18:19]
	v_mul_f64 v[18:19], v[64:65], v[18:19]
	s_waitcnt vmcnt(6) lgkmcnt(6)
	v_mul_f64 v[130:131], v[70:71], v[22:23]
	v_mul_f64 v[22:23], v[68:69], v[22:23]
	s_waitcnt vmcnt(5) lgkmcnt(5)
	v_mul_f64 v[132:133], v[74:75], v[26:27]
	v_mul_f64 v[26:27], v[72:73], v[26:27]
	s_waitcnt vmcnt(4) lgkmcnt(4)
	v_mul_f64 v[134:135], v[78:79], v[30:31]
	v_mul_f64 v[30:31], v[76:77], v[30:31]
	s_waitcnt vmcnt(3) lgkmcnt(3)
	v_mul_f64 v[136:137], v[82:83], v[34:35]
	v_mul_f64 v[34:35], v[80:81], v[34:35]
	s_waitcnt vmcnt(2) lgkmcnt(2)
	v_mul_f64 v[138:139], v[86:87], v[38:39]
	v_mul_f64 v[38:39], v[84:85], v[38:39]
	s_waitcnt vmcnt(1) lgkmcnt(1)
	v_mul_f64 v[140:141], v[90:91], v[42:43]
	v_mul_f64 v[42:43], v[88:89], v[42:43]
	s_waitcnt vmcnt(0) lgkmcnt(0)
	v_mul_f64 v[142:143], v[94:95], v[46:47]
	v_mul_f64 v[46:47], v[92:93], v[46:47]
	v_fma_f64 v[48:49], v[48:49], v[0:1], v[120:121]
	v_fma_f64 v[2:3], v[0:1], v[50:51], -v[2:3]
	v_fma_f64 v[50:51], v[52:53], v[4:5], v[122:123]
	v_fma_f64 v[6:7], v[4:5], v[54:55], -v[6:7]
	;; [unrolled: 2-line block ×12, first 2 shown]
	v_mul_f64 v[0:1], v[48:49], s[0:1]
	v_mul_f64 v[2:3], v[2:3], s[0:1]
	;; [unrolled: 1-line block ×24, first 2 shown]
	v_add_co_u32 v48, vcc_lo, v118, s2
	v_add_co_ci_u32_e32 v49, vcc_lo, s3, v119, vcc_lo
	v_add_co_u32 v50, vcc_lo, v48, s2
	v_add_co_ci_u32_e32 v51, vcc_lo, s3, v49, vcc_lo
	global_store_dwordx4 v[96:97], v[0:3], off
	global_store_dwordx4 v[98:99], v[4:7], off
	;; [unrolled: 1-line block ×12, first 2 shown]
	global_load_dwordx4 v[0:3], v111, s[12:13] offset:1920
	ds_read_b128 v[4:7], v115 offset:1920
	ds_read_b128 v[8:11], v115 offset:2080
	s_waitcnt vmcnt(0) lgkmcnt(1)
	v_mul_f64 v[12:13], v[6:7], v[2:3]
	v_mul_f64 v[2:3], v[4:5], v[2:3]
	v_fma_f64 v[4:5], v[4:5], v[0:1], v[12:13]
	v_fma_f64 v[2:3], v[0:1], v[6:7], -v[2:3]
	v_add_co_u32 v6, s4, s12, v111
	v_add_co_ci_u32_e64 v7, null, s13, 0, s4
	v_mul_f64 v[0:1], v[4:5], s[0:1]
	v_mul_f64 v[2:3], v[2:3], s[0:1]
	v_add_co_u32 v4, vcc_lo, v50, s2
	v_add_co_ci_u32_e32 v5, vcc_lo, s3, v51, vcc_lo
	v_add_co_u32 v12, vcc_lo, 0x800, v6
	v_add_co_ci_u32_e32 v13, vcc_lo, 0, v7, vcc_lo
	;; [unrolled: 2-line block ×3, first 2 shown]
	global_store_dwordx4 v[4:5], v[0:3], off
	global_load_dwordx4 v[0:3], v[12:13], off offset:32
	s_waitcnt vmcnt(0) lgkmcnt(0)
	v_mul_f64 v[6:7], v[10:11], v[2:3]
	v_mul_f64 v[2:3], v[8:9], v[2:3]
	v_fma_f64 v[6:7], v[8:9], v[0:1], v[6:7]
	v_fma_f64 v[2:3], v[0:1], v[10:11], -v[2:3]
	v_mul_f64 v[0:1], v[6:7], s[0:1]
	v_mul_f64 v[2:3], v[2:3], s[0:1]
	global_store_dwordx4 v[14:15], v[0:3], off
	global_load_dwordx4 v[0:3], v[12:13], off offset:192
	ds_read_b128 v[4:7], v115 offset:2240
	ds_read_b128 v[8:11], v115 offset:2400
	s_waitcnt vmcnt(0) lgkmcnt(1)
	v_mul_f64 v[16:17], v[6:7], v[2:3]
	v_mul_f64 v[2:3], v[4:5], v[2:3]
	v_fma_f64 v[4:5], v[4:5], v[0:1], v[16:17]
	v_fma_f64 v[2:3], v[0:1], v[6:7], -v[2:3]
	v_mul_f64 v[0:1], v[4:5], s[0:1]
	v_mul_f64 v[2:3], v[2:3], s[0:1]
	v_add_co_u32 v4, vcc_lo, v14, s2
	v_add_co_ci_u32_e32 v5, vcc_lo, s3, v15, vcc_lo
	global_store_dwordx4 v[4:5], v[0:3], off
	global_load_dwordx4 v[0:3], v[12:13], off offset:352
	v_add_co_u32 v4, vcc_lo, v4, s2
	v_add_co_ci_u32_e32 v5, vcc_lo, s3, v5, vcc_lo
	s_waitcnt vmcnt(0) lgkmcnt(0)
	v_mul_f64 v[6:7], v[10:11], v[2:3]
	v_mul_f64 v[2:3], v[8:9], v[2:3]
	v_fma_f64 v[6:7], v[8:9], v[0:1], v[6:7]
	v_fma_f64 v[2:3], v[0:1], v[10:11], -v[2:3]
	v_mul_f64 v[0:1], v[6:7], s[0:1]
	v_mul_f64 v[2:3], v[2:3], s[0:1]
	global_store_dwordx4 v[4:5], v[0:3], off
.LBB0_15:
	s_endpgm
	.section	.rodata,"a",@progbits
	.p2align	6, 0x0
	.amdhsa_kernel bluestein_single_back_len160_dim1_dp_op_CI_CI
		.amdhsa_group_segment_fixed_size 40960
		.amdhsa_private_segment_fixed_size 0
		.amdhsa_kernarg_size 104
		.amdhsa_user_sgpr_count 6
		.amdhsa_user_sgpr_private_segment_buffer 1
		.amdhsa_user_sgpr_dispatch_ptr 0
		.amdhsa_user_sgpr_queue_ptr 0
		.amdhsa_user_sgpr_kernarg_segment_ptr 1
		.amdhsa_user_sgpr_dispatch_id 0
		.amdhsa_user_sgpr_flat_scratch_init 0
		.amdhsa_user_sgpr_private_segment_size 0
		.amdhsa_wavefront_size32 1
		.amdhsa_uses_dynamic_stack 0
		.amdhsa_system_sgpr_private_segment_wavefront_offset 0
		.amdhsa_system_sgpr_workgroup_id_x 1
		.amdhsa_system_sgpr_workgroup_id_y 0
		.amdhsa_system_sgpr_workgroup_id_z 0
		.amdhsa_system_sgpr_workgroup_info 0
		.amdhsa_system_vgpr_workitem_id 0
		.amdhsa_next_free_vgpr 177
		.amdhsa_next_free_sgpr 24
		.amdhsa_reserve_vcc 1
		.amdhsa_reserve_flat_scratch 0
		.amdhsa_float_round_mode_32 0
		.amdhsa_float_round_mode_16_64 0
		.amdhsa_float_denorm_mode_32 3
		.amdhsa_float_denorm_mode_16_64 3
		.amdhsa_dx10_clamp 1
		.amdhsa_ieee_mode 1
		.amdhsa_fp16_overflow 0
		.amdhsa_workgroup_processor_mode 1
		.amdhsa_memory_ordered 1
		.amdhsa_forward_progress 0
		.amdhsa_shared_vgpr_count 0
		.amdhsa_exception_fp_ieee_invalid_op 0
		.amdhsa_exception_fp_denorm_src 0
		.amdhsa_exception_fp_ieee_div_zero 0
		.amdhsa_exception_fp_ieee_overflow 0
		.amdhsa_exception_fp_ieee_underflow 0
		.amdhsa_exception_fp_ieee_inexact 0
		.amdhsa_exception_int_div_zero 0
	.end_amdhsa_kernel
	.text
.Lfunc_end0:
	.size	bluestein_single_back_len160_dim1_dp_op_CI_CI, .Lfunc_end0-bluestein_single_back_len160_dim1_dp_op_CI_CI
                                        ; -- End function
	.section	.AMDGPU.csdata,"",@progbits
; Kernel info:
; codeLenInByte = 11096
; NumSgprs: 26
; NumVgprs: 177
; ScratchSize: 0
; MemoryBound: 0
; FloatMode: 240
; IeeeMode: 1
; LDSByteSize: 40960 bytes/workgroup (compile time only)
; SGPRBlocks: 3
; VGPRBlocks: 22
; NumSGPRsForWavesPerEU: 26
; NumVGPRsForWavesPerEU: 177
; Occupancy: 5
; WaveLimiterHint : 1
; COMPUTE_PGM_RSRC2:SCRATCH_EN: 0
; COMPUTE_PGM_RSRC2:USER_SGPR: 6
; COMPUTE_PGM_RSRC2:TRAP_HANDLER: 0
; COMPUTE_PGM_RSRC2:TGID_X_EN: 1
; COMPUTE_PGM_RSRC2:TGID_Y_EN: 0
; COMPUTE_PGM_RSRC2:TGID_Z_EN: 0
; COMPUTE_PGM_RSRC2:TIDIG_COMP_CNT: 0
	.text
	.p2alignl 6, 3214868480
	.fill 48, 4, 3214868480
	.type	__hip_cuid_6123483c8378c710,@object ; @__hip_cuid_6123483c8378c710
	.section	.bss,"aw",@nobits
	.globl	__hip_cuid_6123483c8378c710
__hip_cuid_6123483c8378c710:
	.byte	0                               ; 0x0
	.size	__hip_cuid_6123483c8378c710, 1

	.ident	"AMD clang version 19.0.0git (https://github.com/RadeonOpenCompute/llvm-project roc-6.4.0 25133 c7fe45cf4b819c5991fe208aaa96edf142730f1d)"
	.section	".note.GNU-stack","",@progbits
	.addrsig
	.addrsig_sym __hip_cuid_6123483c8378c710
	.amdgpu_metadata
---
amdhsa.kernels:
  - .args:
      - .actual_access:  read_only
        .address_space:  global
        .offset:         0
        .size:           8
        .value_kind:     global_buffer
      - .actual_access:  read_only
        .address_space:  global
        .offset:         8
        .size:           8
        .value_kind:     global_buffer
      - .actual_access:  read_only
        .address_space:  global
        .offset:         16
        .size:           8
        .value_kind:     global_buffer
      - .actual_access:  read_only
        .address_space:  global
        .offset:         24
        .size:           8
        .value_kind:     global_buffer
      - .actual_access:  read_only
        .address_space:  global
        .offset:         32
        .size:           8
        .value_kind:     global_buffer
      - .offset:         40
        .size:           8
        .value_kind:     by_value
      - .address_space:  global
        .offset:         48
        .size:           8
        .value_kind:     global_buffer
      - .address_space:  global
        .offset:         56
        .size:           8
        .value_kind:     global_buffer
      - .address_space:  global
        .offset:         64
        .size:           8
        .value_kind:     global_buffer
      - .address_space:  global
        .offset:         72
        .size:           8
        .value_kind:     global_buffer
      - .offset:         80
        .size:           4
        .value_kind:     by_value
      - .address_space:  global
        .offset:         88
        .size:           8
        .value_kind:     global_buffer
      - .address_space:  global
        .offset:         96
        .size:           8
        .value_kind:     global_buffer
    .group_segment_fixed_size: 40960
    .kernarg_segment_align: 8
    .kernarg_segment_size: 104
    .language:       OpenCL C
    .language_version:
      - 2
      - 0
    .max_flat_workgroup_size: 256
    .name:           bluestein_single_back_len160_dim1_dp_op_CI_CI
    .private_segment_fixed_size: 0
    .sgpr_count:     26
    .sgpr_spill_count: 0
    .symbol:         bluestein_single_back_len160_dim1_dp_op_CI_CI.kd
    .uniform_work_group_size: 1
    .uses_dynamic_stack: false
    .vgpr_count:     177
    .vgpr_spill_count: 0
    .wavefront_size: 32
    .workgroup_processor_mode: 1
amdhsa.target:   amdgcn-amd-amdhsa--gfx1030
amdhsa.version:
  - 1
  - 2
...

	.end_amdgpu_metadata
